;; amdgpu-corpus repo=zjin-lcf/HeCBench kind=compiled arch=gfx1250 opt=O3
	.amdgcn_target "amdgcn-amd-amdhsa--gfx1250"
	.amdhsa_code_object_version 6
	.text
	.protected	_ZN10mean_shift3gpu10mean_shiftEPKfPf ; -- Begin function _ZN10mean_shift3gpu10mean_shiftEPKfPf
	.globl	_ZN10mean_shift3gpu10mean_shiftEPKfPf
	.p2align	8
	.type	_ZN10mean_shift3gpu10mean_shiftEPKfPf,@function
_ZN10mean_shift3gpu10mean_shiftEPKfPf:  ; @_ZN10mean_shift3gpu10mean_shiftEPKfPf
; %bb.0:
	s_load_b32 s2, s[0:1], 0x1c
	s_bfe_u32 s3, ttmp6, 0x4000c
	s_and_b32 s4, ttmp6, 15
	s_add_co_i32 s3, s3, 1
	s_getreg_b32 s5, hwreg(HW_REG_IB_STS2, 6, 4)
	s_mul_i32 s3, ttmp9, s3
	s_delay_alu instid0(SALU_CYCLE_1) | instskip(SKIP_4) | instid1(SALU_CYCLE_1)
	s_add_co_i32 s4, s4, s3
	s_wait_kmcnt 0x0
	s_and_b32 s2, s2, 0xffff
	s_cmp_eq_u32 s5, 0
	s_cselect_b32 s3, ttmp9, s4
	v_mad_u32 v0, s3, s2, v0
	s_mov_b32 s2, exec_lo
	s_delay_alu instid0(VALU_DEP_1)
	v_cmpx_gt_u32_e32 0x2710, v0
	s_cbranch_execz .LBB0_12
; %bb.1:
	s_load_b128 s[0:3], s[0:1], 0x0
	v_lshl_add_u32 v4, v0, 1, v0
	v_mov_b32_e32 v5, 0
	s_mov_b64 s[8:9], 0
	s_wait_kmcnt 0x0
	s_delay_alu instid0(VALU_DEP_1)
	v_lshl_add_u64 v[0:1], v[4:5], 2, s[0:1]
	global_load_b96 v[0:2], v[0:1], off
	s_wait_loadcnt 0x0
	v_dual_mov_b32 v8, v0 :: v_dual_mov_b32 v3, v5
	v_dual_mov_b32 v6, v5 :: v_dual_mov_b32 v7, v5
	;; [unrolled: 1-line block ×3, first 2 shown]
	s_branch .LBB0_3
.LBB0_2:                                ;   in Loop: Header=BB0_3 Depth=1
	s_or_b32 exec_lo, exec_lo, s7
	s_add_nc_u64 s[8:9], s[8:9], 48
	s_delay_alu instid0(SALU_CYCLE_1)
	s_cmp_eq_u64 s[8:9], 0x1d4c0
	s_cbranch_scc1 .LBB0_11
.LBB0_3:                                ; =>This Inner Loop Header: Depth=1
	s_add_nc_u64 s[10:11], s[0:1], s[8:9]
	s_mov_b32 s7, exec_lo
	s_load_b96 s[4:6], s[10:11], 0x0
	s_wait_kmcnt 0x0
	v_dual_mov_b32 v10, s4 :: v_dual_mov_b32 v11, s6
	v_subrev_f32_e32 v2, s5, v1
	s_delay_alu instid0(VALU_DEP_2) | instskip(NEXT) | instid1(VALU_DEP_1)
	v_pk_add_f32 v[10:11], v[8:9], v[10:11] neg_lo:[0,1] neg_hi:[0,1]
	v_pk_mul_f32 v[10:11], v[10:11], v[10:11]
	s_delay_alu instid0(VALU_DEP_1) | instskip(NEXT) | instid1(VALU_DEP_1)
	v_fma_f32 v2, v2, v2, v10
	v_add_f32_e32 v2, v2, v11
	s_delay_alu instid0(VALU_DEP_1)
	v_cmpx_ge_f32_e32 0x42700000, v2
	s_cbranch_execz .LBB0_5
; %bb.4:                                ;   in Loop: Header=BB0_3 Depth=1
	v_mul_f32_e32 v2, 0xbd000000, v2
	s_delay_alu instid0(VALU_DEP_1) | instskip(SKIP_1) | instid1(VALU_DEP_2)
	v_mul_f32_e32 v10, 0x3fb8aa3b, v2
	v_cmp_ngt_f32_e32 vcc_lo, 0xc2ce8ed0, v2
	v_fma_f32 v11, 0x3fb8aa3b, v2, -v10
	v_rndne_f32_e32 v12, v10
	s_delay_alu instid0(VALU_DEP_1) | instskip(NEXT) | instid1(VALU_DEP_1)
	v_dual_fmac_f32 v11, 0x32a5705f, v2 :: v_dual_sub_f32 v10, v10, v12
	v_add_f32_e32 v10, v10, v11
	v_cvt_i32_f32_e32 v11, v12
	s_delay_alu instid0(VALU_DEP_2) | instskip(SKIP_1) | instid1(TRANS32_DEP_1)
	v_exp_f32_e32 v10, v10
	v_nop
	v_ldexp_f32 v10, v10, v11
	s_delay_alu instid0(VALU_DEP_1) | instskip(SKIP_2) | instid1(VALU_DEP_3)
	v_cndmask_b32_e32 v12, 0, v10, vcc_lo
	v_cmp_nlt_f32_e32 vcc_lo, 0x42b17218, v2
	v_mov_b64_e32 v[10:11], s[4:5]
	v_cndmask_b32_e32 v2, 0x7f800000, v12, vcc_lo
	s_delay_alu instid0(VALU_DEP_1)
	v_pk_fma_f32 v[6:7], v[2:3], v[10:11], v[6:7] op_sel_hi:[0,1,1]
	v_dual_fmac_f32 v0, s6, v2 :: v_dual_add_f32 v3, v3, v2
.LBB0_5:                                ;   in Loop: Header=BB0_3 Depth=1
	s_or_b32 exec_lo, exec_lo, s7
	s_load_b96 s[4:6], s[10:11], 0xc
	s_mov_b32 s7, exec_lo
	s_wait_kmcnt 0x0
	v_dual_mov_b32 v10, s4 :: v_dual_mov_b32 v11, s6
	v_subrev_f32_e32 v2, s5, v1
	s_delay_alu instid0(VALU_DEP_2) | instskip(NEXT) | instid1(VALU_DEP_1)
	v_pk_add_f32 v[10:11], v[8:9], v[10:11] neg_lo:[0,1] neg_hi:[0,1]
	v_pk_mul_f32 v[10:11], v[10:11], v[10:11]
	s_delay_alu instid0(VALU_DEP_1) | instskip(NEXT) | instid1(VALU_DEP_1)
	v_fma_f32 v2, v2, v2, v10
	v_add_f32_e32 v2, v2, v11
	s_delay_alu instid0(VALU_DEP_1)
	v_cmpx_ge_f32_e32 0x42700000, v2
	s_cbranch_execz .LBB0_7
; %bb.6:                                ;   in Loop: Header=BB0_3 Depth=1
	v_mul_f32_e32 v2, 0xbd000000, v2
	s_delay_alu instid0(VALU_DEP_1) | instskip(SKIP_1) | instid1(VALU_DEP_2)
	v_mul_f32_e32 v10, 0x3fb8aa3b, v2
	v_cmp_ngt_f32_e32 vcc_lo, 0xc2ce8ed0, v2
	v_fma_f32 v11, 0x3fb8aa3b, v2, -v10
	v_rndne_f32_e32 v12, v10
	s_delay_alu instid0(VALU_DEP_1) | instskip(NEXT) | instid1(VALU_DEP_1)
	v_dual_fmac_f32 v11, 0x32a5705f, v2 :: v_dual_sub_f32 v10, v10, v12
	v_add_f32_e32 v10, v10, v11
	v_cvt_i32_f32_e32 v11, v12
	s_delay_alu instid0(VALU_DEP_2) | instskip(SKIP_1) | instid1(TRANS32_DEP_1)
	v_exp_f32_e32 v10, v10
	v_nop
	v_ldexp_f32 v10, v10, v11
	s_delay_alu instid0(VALU_DEP_1) | instskip(SKIP_2) | instid1(VALU_DEP_3)
	v_cndmask_b32_e32 v12, 0, v10, vcc_lo
	v_cmp_nlt_f32_e32 vcc_lo, 0x42b17218, v2
	v_mov_b64_e32 v[10:11], s[4:5]
	v_cndmask_b32_e32 v2, 0x7f800000, v12, vcc_lo
	s_delay_alu instid0(VALU_DEP_1)
	v_pk_fma_f32 v[6:7], v[2:3], v[10:11], v[6:7] op_sel_hi:[0,1,1]
	v_dual_fmac_f32 v0, s6, v2 :: v_dual_add_f32 v3, v3, v2
.LBB0_7:                                ;   in Loop: Header=BB0_3 Depth=1
	s_or_b32 exec_lo, exec_lo, s7
	s_load_b96 s[4:6], s[10:11], 0x18
	s_mov_b32 s7, exec_lo
	;; [unrolled: 39-line block ×3, first 2 shown]
	s_wait_kmcnt 0x0
	v_dual_mov_b32 v10, s4 :: v_dual_mov_b32 v11, s6
	v_subrev_f32_e32 v2, s5, v1
	s_delay_alu instid0(VALU_DEP_2) | instskip(NEXT) | instid1(VALU_DEP_1)
	v_pk_add_f32 v[10:11], v[8:9], v[10:11] neg_lo:[0,1] neg_hi:[0,1]
	v_pk_mul_f32 v[10:11], v[10:11], v[10:11]
	s_delay_alu instid0(VALU_DEP_1) | instskip(NEXT) | instid1(VALU_DEP_1)
	v_fma_f32 v2, v2, v2, v10
	v_add_f32_e32 v2, v2, v11
	s_delay_alu instid0(VALU_DEP_1)
	v_cmpx_ge_f32_e32 0x42700000, v2
	s_cbranch_execz .LBB0_2
; %bb.10:                               ;   in Loop: Header=BB0_3 Depth=1
	v_mul_f32_e32 v2, 0xbd000000, v2
	s_delay_alu instid0(VALU_DEP_1) | instskip(SKIP_1) | instid1(VALU_DEP_2)
	v_mul_f32_e32 v10, 0x3fb8aa3b, v2
	v_cmp_ngt_f32_e32 vcc_lo, 0xc2ce8ed0, v2
	v_fma_f32 v11, 0x3fb8aa3b, v2, -v10
	v_rndne_f32_e32 v12, v10
	s_delay_alu instid0(VALU_DEP_1) | instskip(NEXT) | instid1(VALU_DEP_1)
	v_dual_fmac_f32 v11, 0x32a5705f, v2 :: v_dual_sub_f32 v10, v10, v12
	v_add_f32_e32 v10, v10, v11
	v_cvt_i32_f32_e32 v11, v12
	s_delay_alu instid0(VALU_DEP_2) | instskip(SKIP_1) | instid1(TRANS32_DEP_1)
	v_exp_f32_e32 v10, v10
	v_nop
	v_ldexp_f32 v10, v10, v11
	s_delay_alu instid0(VALU_DEP_1) | instskip(SKIP_2) | instid1(VALU_DEP_3)
	v_cndmask_b32_e32 v12, 0, v10, vcc_lo
	v_cmp_nlt_f32_e32 vcc_lo, 0x42b17218, v2
	v_mov_b64_e32 v[10:11], s[4:5]
	v_cndmask_b32_e32 v2, 0x7f800000, v12, vcc_lo
	s_delay_alu instid0(VALU_DEP_1)
	v_pk_fma_f32 v[6:7], v[2:3], v[10:11], v[6:7] op_sel_hi:[0,1,1]
	v_dual_fmac_f32 v0, s6, v2 :: v_dual_add_f32 v3, v3, v2
	s_branch .LBB0_2
.LBB0_11:
	v_div_scale_f32 v1, null, v3, v3, v7
	v_div_scale_f32 v2, null, v3, v3, v6
	;; [unrolled: 1-line block ×3, first 2 shown]
	s_delay_alu instid0(VALU_DEP_3) | instskip(NEXT) | instid1(VALU_DEP_2)
	v_rcp_f32_e32 v9, v1
	v_rcp_f32_e32 v10, v2
	v_div_scale_f32 v12, vcc_lo, v7, v3, v7
	s_delay_alu instid0(VALU_DEP_2) | instskip(SKIP_1) | instid1(TRANS32_DEP_3)
	v_rcp_f32_e32 v11, v8
	v_div_scale_f32 v15, s0, v6, v3, v6
	v_fma_f32 v13, -v1, v9, 1.0
	s_delay_alu instid0(TRANS32_DEP_2) | instskip(NEXT) | instid1(TRANS32_DEP_1)
	v_fma_f32 v14, -v2, v10, 1.0
	v_fma_f32 v16, -v8, v11, 1.0
	s_delay_alu instid0(VALU_DEP_2) | instskip(SKIP_1) | instid1(VALU_DEP_2)
	v_dual_fmac_f32 v9, v13, v9 :: v_dual_fmac_f32 v10, v14, v10
	v_div_scale_f32 v13, s1, v0, v3, v0
	v_dual_fmac_f32 v11, v16, v11 :: v_dual_mul_f32 v16, v15, v10
	s_delay_alu instid0(VALU_DEP_1) | instskip(NEXT) | instid1(VALU_DEP_1)
	v_dual_mul_f32 v14, v12, v9 :: v_dual_mul_f32 v17, v13, v11
	v_dual_fma_f32 v19, -v2, v16, v15 :: v_dual_fma_f32 v18, -v1, v14, v12
	s_delay_alu instid0(VALU_DEP_1) | instskip(NEXT) | instid1(VALU_DEP_1)
	v_dual_fma_f32 v20, -v8, v17, v13 :: v_dual_fmac_f32 v16, v19, v10
	v_dual_fmac_f32 v14, v18, v9 :: v_dual_fmac_f32 v17, v20, v11
	s_delay_alu instid0(VALU_DEP_1) | instskip(NEXT) | instid1(VALU_DEP_2)
	v_dual_fma_f32 v2, -v2, v16, v15 :: v_dual_fma_f32 v1, -v1, v14, v12
	v_fma_f32 v8, -v8, v17, v13
	s_delay_alu instid0(VALU_DEP_2) | instskip(SKIP_1) | instid1(VALU_DEP_3)
	v_div_fmas_f32 v1, v1, v9, v14
	s_mov_b32 vcc_lo, s0
	v_div_fmas_f32 v2, v2, v10, v16
	s_mov_b32 vcc_lo, s1
	v_div_fmas_f32 v10, v8, v11, v17
	v_lshl_add_u64 v[8:9], v[4:5], 2, s[2:3]
	v_div_fixup_f32 v5, v1, v3, v7
	v_div_fixup_f32 v4, v2, v3, v6
	s_delay_alu instid0(VALU_DEP_4)
	v_div_fixup_f32 v6, v10, v3, v0
	global_store_b96 v[8:9], v[4:6], off
.LBB0_12:
	s_endpgm
	.section	.rodata,"a",@progbits
	.p2align	6, 0x0
	.amdhsa_kernel _ZN10mean_shift3gpu10mean_shiftEPKfPf
		.amdhsa_group_segment_fixed_size 0
		.amdhsa_private_segment_fixed_size 0
		.amdhsa_kernarg_size 272
		.amdhsa_user_sgpr_count 2
		.amdhsa_user_sgpr_dispatch_ptr 0
		.amdhsa_user_sgpr_queue_ptr 0
		.amdhsa_user_sgpr_kernarg_segment_ptr 1
		.amdhsa_user_sgpr_dispatch_id 0
		.amdhsa_user_sgpr_kernarg_preload_length 0
		.amdhsa_user_sgpr_kernarg_preload_offset 0
		.amdhsa_user_sgpr_private_segment_size 0
		.amdhsa_wavefront_size32 1
		.amdhsa_uses_dynamic_stack 0
		.amdhsa_enable_private_segment 0
		.amdhsa_system_sgpr_workgroup_id_x 1
		.amdhsa_system_sgpr_workgroup_id_y 0
		.amdhsa_system_sgpr_workgroup_id_z 0
		.amdhsa_system_sgpr_workgroup_info 0
		.amdhsa_system_vgpr_workitem_id 0
		.amdhsa_next_free_vgpr 21
		.amdhsa_next_free_sgpr 12
		.amdhsa_named_barrier_count 0
		.amdhsa_reserve_vcc 1
		.amdhsa_float_round_mode_32 0
		.amdhsa_float_round_mode_16_64 0
		.amdhsa_float_denorm_mode_32 3
		.amdhsa_float_denorm_mode_16_64 3
		.amdhsa_fp16_overflow 0
		.amdhsa_memory_ordered 1
		.amdhsa_forward_progress 1
		.amdhsa_inst_pref_size 11
		.amdhsa_round_robin_scheduling 0
		.amdhsa_exception_fp_ieee_invalid_op 0
		.amdhsa_exception_fp_denorm_src 0
		.amdhsa_exception_fp_ieee_div_zero 0
		.amdhsa_exception_fp_ieee_overflow 0
		.amdhsa_exception_fp_ieee_underflow 0
		.amdhsa_exception_fp_ieee_inexact 0
		.amdhsa_exception_int_div_zero 0
	.end_amdhsa_kernel
	.text
.Lfunc_end0:
	.size	_ZN10mean_shift3gpu10mean_shiftEPKfPf, .Lfunc_end0-_ZN10mean_shift3gpu10mean_shiftEPKfPf
                                        ; -- End function
	.set _ZN10mean_shift3gpu10mean_shiftEPKfPf.num_vgpr, 21
	.set _ZN10mean_shift3gpu10mean_shiftEPKfPf.num_agpr, 0
	.set _ZN10mean_shift3gpu10mean_shiftEPKfPf.numbered_sgpr, 12
	.set _ZN10mean_shift3gpu10mean_shiftEPKfPf.num_named_barrier, 0
	.set _ZN10mean_shift3gpu10mean_shiftEPKfPf.private_seg_size, 0
	.set _ZN10mean_shift3gpu10mean_shiftEPKfPf.uses_vcc, 1
	.set _ZN10mean_shift3gpu10mean_shiftEPKfPf.uses_flat_scratch, 0
	.set _ZN10mean_shift3gpu10mean_shiftEPKfPf.has_dyn_sized_stack, 0
	.set _ZN10mean_shift3gpu10mean_shiftEPKfPf.has_recursion, 0
	.set _ZN10mean_shift3gpu10mean_shiftEPKfPf.has_indirect_call, 0
	.section	.AMDGPU.csdata,"",@progbits
; Kernel info:
; codeLenInByte = 1356
; TotalNumSgprs: 14
; NumVgprs: 21
; ScratchSize: 0
; MemoryBound: 0
; FloatMode: 240
; IeeeMode: 1
; LDSByteSize: 0 bytes/workgroup (compile time only)
; SGPRBlocks: 0
; VGPRBlocks: 1
; NumSGPRsForWavesPerEU: 14
; NumVGPRsForWavesPerEU: 21
; NamedBarCnt: 0
; Occupancy: 16
; WaveLimiterHint : 0
; COMPUTE_PGM_RSRC2:SCRATCH_EN: 0
; COMPUTE_PGM_RSRC2:USER_SGPR: 2
; COMPUTE_PGM_RSRC2:TRAP_HANDLER: 0
; COMPUTE_PGM_RSRC2:TGID_X_EN: 1
; COMPUTE_PGM_RSRC2:TGID_Y_EN: 0
; COMPUTE_PGM_RSRC2:TGID_Z_EN: 0
; COMPUTE_PGM_RSRC2:TIDIG_COMP_CNT: 0
	.text
	.protected	_ZN10mean_shift3gpu17mean_shift_tilingEPKfPf ; -- Begin function _ZN10mean_shift3gpu17mean_shift_tilingEPKfPf
	.globl	_ZN10mean_shift3gpu17mean_shift_tilingEPKfPf
	.p2align	8
	.type	_ZN10mean_shift3gpu17mean_shift_tilingEPKfPf,@function
_ZN10mean_shift3gpu17mean_shift_tilingEPKfPf: ; @_ZN10mean_shift3gpu17mean_shift_tilingEPKfPf
; %bb.0:
	s_load_b32 s2, s[0:1], 0x1c
	s_bfe_u32 s3, ttmp6, 0x4000c
	s_and_b32 s4, ttmp6, 15
	s_add_co_i32 s3, s3, 1
	s_getreg_b32 s5, hwreg(HW_REG_IB_STS2, 6, 4)
	s_mul_i32 s3, ttmp9, s3
	v_dual_mov_b32 v7, 0 :: v_dual_mov_b32 v1, 0
	s_add_co_i32 s4, s4, s3
	v_mul_u32_u24_e32 v20, 12, v0
	v_lshl_add_u32 v21, v0, 2, 0x300
	s_delay_alu instid0(VALU_DEP_3)
	v_dual_mov_b32 v11, v7 :: v_dual_mov_b32 v18, 0
	v_mov_b32_e32 v10, v7
	s_wait_kmcnt 0x0
	s_and_b32 s2, s2, 0xffff
	s_cmp_eq_u32 s5, 0
	s_cselect_b32 s3, ttmp9, s4
	s_mov_b32 s4, 0
	v_mad_u32 v19, s3, s2, v0
	s_load_b128 s[0:3], s[0:1], 0x0
	s_delay_alu instid0(VALU_DEP_1) | instskip(NEXT) | instid1(VALU_DEP_1)
	v_lshl_add_u32 v8, v19, 1, v19
	v_ashrrev_i32_e32 v9, 31, v8
	s_wait_kmcnt 0x0
	s_delay_alu instid0(VALU_DEP_1)
	v_lshl_add_u64 v[12:13], v[8:9], 2, s[0:1]
	s_branch .LBB1_2
.LBB1_1:                                ;   in Loop: Header=BB1_2 Depth=1
	s_add_co_i32 s4, s4, 1
	s_delay_alu instid0(SALU_CYCLE_1)
	s_cmp_eq_u32 s4, 0x9d
	s_barrier_signal -1
	s_barrier_wait -1
	s_cbranch_scc1 .LBB1_16
.LBB1_2:                                ; =>This Loop Header: Depth=1
                                        ;     Child Loop BB1_8 Depth 2
	v_lshl_add_u32 v2, s4, 6, v0
	s_mov_b32 s5, exec_lo
	s_delay_alu instid0(VALU_DEP_1)
	v_cmpx_lt_u32_e32 0x270f, v2
	s_xor_b32 s5, exec_lo, s5
	s_cbranch_execz .LBB1_4
; %bb.3:                                ;   in Loop: Header=BB1_2 Depth=1
	ds_store_2addr_b32 v20, v7, v7 offset1:1
	ds_store_b32 v20, v7 offset:8
                                        ; implicit-def: $vgpr2
.LBB1_4:                                ;   in Loop: Header=BB1_2 Depth=1
	s_or_saveexec_b32 s5, s5
	v_mov_b32_e32 v3, 0
	s_xor_b32 exec_lo, exec_lo, s5
	s_cbranch_execz .LBB1_6
; %bb.5:                                ;   in Loop: Header=BB1_2 Depth=1
	v_lshl_add_u32 v6, v2, 1, v2
	s_delay_alu instid0(VALU_DEP_1)
	v_lshl_add_u64 v[2:3], v[6:7], 2, s[0:1]
	global_load_b96 v[4:6], v[2:3], off
	s_wait_xcnt 0x0
	v_mov_b32_e32 v3, 1.0
	s_wait_loadcnt 0x0
	ds_store_2addr_b32 v20, v4, v5 offset1:1
	ds_store_b32 v20, v6 offset:8
.LBB1_6:                                ;   in Loop: Header=BB1_2 Depth=1
	s_or_b32 exec_lo, exec_lo, s5
	ds_store_b32 v21, v3
	s_wait_dscnt 0x0
	s_barrier_signal -1
	s_barrier_wait -1
	global_load_b96 v[2:4], v[12:13], off
	s_mov_b32 s5, 0
	s_mov_b32 s6, 0
	s_wait_loadcnt 0x0
	v_dual_mov_b32 v14, v2 :: v_dual_mov_b32 v15, v4
	s_branch .LBB1_8
.LBB1_7:                                ;   in Loop: Header=BB1_8 Depth=2
	s_or_b32 exec_lo, exec_lo, s7
	s_add_co_i32 s6, s6, 16
	s_add_co_i32 s5, s5, 48
	s_cmp_eq_u32 s6, 0x100
	s_cbranch_scc1 .LBB1_1
.LBB1_8:                                ;   Parent Loop BB1_2 Depth=1
                                        ; =>  This Inner Loop Header: Depth=2
	v_mov_b32_e32 v2, s5
	s_mov_b32 s7, exec_lo
	ds_load_b96 v[4:6], v2
	s_wait_dscnt 0x0
	v_dual_mov_b32 v2, s6 :: v_dual_mov_b32 v17, v6
	v_mov_b32_e32 v16, v4
	ds_load_b32 v2, v2 offset:768
	v_sub_f32_e32 v22, v3, v5
	v_pk_add_f32 v[16:17], v[14:15], v[16:17] neg_lo:[0,1] neg_hi:[0,1]
	s_delay_alu instid0(VALU_DEP_1) | instskip(NEXT) | instid1(VALU_DEP_1)
	v_pk_mul_f32 v[16:17], v[16:17], v[16:17]
	v_fma_f32 v16, v22, v22, v16
	s_wait_dscnt 0x0
	s_delay_alu instid0(VALU_DEP_1) | instskip(NEXT) | instid1(VALU_DEP_1)
	v_dual_add_f32 v16, v16, v17 :: v_dual_mul_f32 v17, 0x42700000, v2
	v_cmpx_le_f32_e32 v16, v17
	s_cbranch_execz .LBB1_10
; %bb.9:                                ;   in Loop: Header=BB1_8 Depth=2
	v_mul_f32_e32 v16, 0xbd000000, v16
	s_delay_alu instid0(VALU_DEP_1) | instskip(NEXT) | instid1(VALU_DEP_1)
	v_mul_f32_e32 v17, 0x3fb8aa3b, v16
	v_fma_f32 v22, 0x3fb8aa3b, v16, -v17
	v_rndne_f32_e32 v23, v17
	s_delay_alu instid0(VALU_DEP_1) | instskip(SKIP_1) | instid1(VALU_DEP_4)
	v_sub_f32_e32 v17, v17, v23
	v_cmp_ngt_f32_e32 vcc_lo, 0xc2ce8ed0, v16
	v_fmac_f32_e32 v22, 0x32a5705f, v16
	s_delay_alu instid0(VALU_DEP_1) | instskip(SKIP_1) | instid1(VALU_DEP_2)
	v_add_f32_e32 v17, v17, v22
	v_cvt_i32_f32_e32 v22, v23
	v_exp_f32_e32 v17, v17
	v_nop
	s_delay_alu instid0(TRANS32_DEP_1) | instskip(NEXT) | instid1(VALU_DEP_1)
	v_ldexp_f32 v17, v17, v22
	v_cndmask_b32_e32 v17, 0, v17, vcc_lo
	v_cmp_nlt_f32_e32 vcc_lo, 0x42b17218, v16
	s_delay_alu instid0(VALU_DEP_2) | instskip(NEXT) | instid1(VALU_DEP_1)
	v_cndmask_b32_e32 v16, 0x7f800000, v17, vcc_lo
	v_pk_fma_f32 v[10:11], v[16:17], v[4:5], v[10:11] op_sel_hi:[0,1,1]
	v_dual_fmac_f32 v18, v16, v6 :: v_dual_fmac_f32 v1, v2, v16
.LBB1_10:                               ;   in Loop: Header=BB1_8 Depth=2
	s_or_b32 exec_lo, exec_lo, s7
	v_mov_b32_e32 v2, s5
	s_mov_b32 s7, exec_lo
	ds_load_2addr_b32 v[16:17], v2 offset0:3 offset1:4
	ds_load_b32 v5, v2 offset:20
	s_wait_dscnt 0x1
	v_dual_mov_b32 v2, s6 :: v_dual_mov_b32 v4, v16
	s_wait_dscnt 0x0
	s_delay_alu instid0(VALU_DEP_1) | instskip(SKIP_3) | instid1(VALU_DEP_1)
	v_pk_add_f32 v[22:23], v[14:15], v[4:5] neg_lo:[0,1] neg_hi:[0,1]
	v_sub_f32_e32 v4, v3, v17
	ds_load_b32 v2, v2 offset:772
	v_pk_mul_f32 v[22:23], v[22:23], v[22:23]
	v_fma_f32 v4, v4, v4, v22
	s_delay_alu instid0(VALU_DEP_1) | instskip(SKIP_2) | instid1(VALU_DEP_1)
	v_add_f32_e32 v4, v4, v23
	s_wait_dscnt 0x0
	v_mul_f32_e32 v6, 0x42700000, v2
	v_cmpx_le_f32_e32 v4, v6
	s_cbranch_execz .LBB1_12
; %bb.11:                               ;   in Loop: Header=BB1_8 Depth=2
	v_mul_f32_e32 v4, 0xbd000000, v4
	s_delay_alu instid0(VALU_DEP_1) | instskip(SKIP_1) | instid1(VALU_DEP_2)
	v_mul_f32_e32 v6, 0x3fb8aa3b, v4
	v_cmp_ngt_f32_e32 vcc_lo, 0xc2ce8ed0, v4
	v_fma_f32 v22, 0x3fb8aa3b, v4, -v6
	v_rndne_f32_e32 v23, v6
	s_delay_alu instid0(VALU_DEP_2) | instskip(NEXT) | instid1(VALU_DEP_2)
	v_fmac_f32_e32 v22, 0x32a5705f, v4
	v_sub_f32_e32 v6, v6, v23
	s_delay_alu instid0(VALU_DEP_1) | instskip(SKIP_1) | instid1(VALU_DEP_2)
	v_add_f32_e32 v6, v6, v22
	v_cvt_i32_f32_e32 v22, v23
	v_exp_f32_e32 v6, v6
	v_nop
	s_delay_alu instid0(TRANS32_DEP_1) | instskip(NEXT) | instid1(VALU_DEP_1)
	v_ldexp_f32 v6, v6, v22
	v_cndmask_b32_e32 v6, 0, v6, vcc_lo
	v_cmp_nlt_f32_e32 vcc_lo, 0x42b17218, v4
	s_delay_alu instid0(VALU_DEP_2) | instskip(NEXT) | instid1(VALU_DEP_1)
	v_cndmask_b32_e32 v4, 0x7f800000, v6, vcc_lo
	v_pk_fma_f32 v[10:11], v[4:5], v[16:17], v[10:11] op_sel_hi:[0,1,1]
	v_dual_fmac_f32 v18, v4, v5 :: v_dual_fmac_f32 v1, v2, v4
.LBB1_12:                               ;   in Loop: Header=BB1_8 Depth=2
	s_or_b32 exec_lo, exec_lo, s7
	v_mov_b32_e32 v2, s5
	s_mov_b32 s7, exec_lo
	ds_load_b64 v[16:17], v2 offset:24
	ds_load_b32 v5, v2 offset:32
	s_wait_dscnt 0x1
	v_dual_mov_b32 v2, s6 :: v_dual_mov_b32 v4, v16
	s_wait_dscnt 0x0
	s_delay_alu instid0(VALU_DEP_1) | instskip(SKIP_3) | instid1(VALU_DEP_1)
	v_pk_add_f32 v[22:23], v[14:15], v[4:5] neg_lo:[0,1] neg_hi:[0,1]
	v_sub_f32_e32 v4, v3, v17
	ds_load_b32 v2, v2 offset:776
	v_pk_mul_f32 v[22:23], v[22:23], v[22:23]
	v_fma_f32 v4, v4, v4, v22
	s_delay_alu instid0(VALU_DEP_1) | instskip(SKIP_2) | instid1(VALU_DEP_1)
	v_add_f32_e32 v4, v4, v23
	s_wait_dscnt 0x0
	v_mul_f32_e32 v6, 0x42700000, v2
	v_cmpx_le_f32_e32 v4, v6
	s_cbranch_execz .LBB1_14
; %bb.13:                               ;   in Loop: Header=BB1_8 Depth=2
	v_mul_f32_e32 v4, 0xbd000000, v4
	s_delay_alu instid0(VALU_DEP_1) | instskip(SKIP_1) | instid1(VALU_DEP_2)
	v_mul_f32_e32 v6, 0x3fb8aa3b, v4
	v_cmp_ngt_f32_e32 vcc_lo, 0xc2ce8ed0, v4
	v_fma_f32 v22, 0x3fb8aa3b, v4, -v6
	v_rndne_f32_e32 v23, v6
	s_delay_alu instid0(VALU_DEP_2) | instskip(NEXT) | instid1(VALU_DEP_2)
	v_fmac_f32_e32 v22, 0x32a5705f, v4
	v_sub_f32_e32 v6, v6, v23
	s_delay_alu instid0(VALU_DEP_1) | instskip(SKIP_1) | instid1(VALU_DEP_2)
	v_add_f32_e32 v6, v6, v22
	v_cvt_i32_f32_e32 v22, v23
	v_exp_f32_e32 v6, v6
	v_nop
	s_delay_alu instid0(TRANS32_DEP_1) | instskip(NEXT) | instid1(VALU_DEP_1)
	v_ldexp_f32 v6, v6, v22
	v_cndmask_b32_e32 v6, 0, v6, vcc_lo
	v_cmp_nlt_f32_e32 vcc_lo, 0x42b17218, v4
	s_delay_alu instid0(VALU_DEP_2) | instskip(NEXT) | instid1(VALU_DEP_1)
	v_cndmask_b32_e32 v4, 0x7f800000, v6, vcc_lo
	v_pk_fma_f32 v[10:11], v[4:5], v[16:17], v[10:11] op_sel_hi:[0,1,1]
	v_dual_fmac_f32 v18, v4, v5 :: v_dual_fmac_f32 v1, v2, v4
.LBB1_14:                               ;   in Loop: Header=BB1_8 Depth=2
	s_or_b32 exec_lo, exec_lo, s7
	v_mov_b32_e32 v2, s5
	s_mov_b32 s7, exec_lo
	ds_load_2addr_b32 v[16:17], v2 offset0:9 offset1:10
	ds_load_b32 v5, v2 offset:44
	s_wait_dscnt 0x1
	v_dual_mov_b32 v2, s6 :: v_dual_mov_b32 v4, v16
	s_wait_dscnt 0x0
	s_delay_alu instid0(VALU_DEP_1) | instskip(SKIP_3) | instid1(VALU_DEP_1)
	v_pk_add_f32 v[22:23], v[14:15], v[4:5] neg_lo:[0,1] neg_hi:[0,1]
	v_sub_f32_e32 v4, v3, v17
	ds_load_b32 v2, v2 offset:780
	v_pk_mul_f32 v[22:23], v[22:23], v[22:23]
	v_fma_f32 v4, v4, v4, v22
	s_delay_alu instid0(VALU_DEP_1) | instskip(SKIP_2) | instid1(VALU_DEP_1)
	v_add_f32_e32 v4, v4, v23
	s_wait_dscnt 0x0
	v_mul_f32_e32 v6, 0x42700000, v2
	v_cmpx_le_f32_e32 v4, v6
	s_cbranch_execz .LBB1_7
; %bb.15:                               ;   in Loop: Header=BB1_8 Depth=2
	v_mul_f32_e32 v4, 0xbd000000, v4
	s_delay_alu instid0(VALU_DEP_1) | instskip(SKIP_1) | instid1(VALU_DEP_2)
	v_mul_f32_e32 v6, 0x3fb8aa3b, v4
	v_cmp_ngt_f32_e32 vcc_lo, 0xc2ce8ed0, v4
	v_fma_f32 v22, 0x3fb8aa3b, v4, -v6
	v_rndne_f32_e32 v23, v6
	s_delay_alu instid0(VALU_DEP_2) | instskip(NEXT) | instid1(VALU_DEP_2)
	v_fmac_f32_e32 v22, 0x32a5705f, v4
	v_sub_f32_e32 v6, v6, v23
	s_delay_alu instid0(VALU_DEP_1) | instskip(SKIP_1) | instid1(VALU_DEP_2)
	v_add_f32_e32 v6, v6, v22
	v_cvt_i32_f32_e32 v22, v23
	v_exp_f32_e32 v6, v6
	v_nop
	s_delay_alu instid0(TRANS32_DEP_1) | instskip(NEXT) | instid1(VALU_DEP_1)
	v_ldexp_f32 v6, v6, v22
	v_cndmask_b32_e32 v6, 0, v6, vcc_lo
	v_cmp_nlt_f32_e32 vcc_lo, 0x42b17218, v4
	s_delay_alu instid0(VALU_DEP_2) | instskip(NEXT) | instid1(VALU_DEP_1)
	v_cndmask_b32_e32 v4, 0x7f800000, v6, vcc_lo
	v_pk_fma_f32 v[10:11], v[4:5], v[16:17], v[10:11] op_sel_hi:[0,1,1]
	v_dual_fmac_f32 v18, v4, v5 :: v_dual_fmac_f32 v1, v2, v4
	s_branch .LBB1_7
.LBB1_16:
	s_mov_b32 s0, exec_lo
	v_cmpx_gt_i32_e32 0x2710, v19
	s_cbranch_execz .LBB1_18
; %bb.17:
	v_div_scale_f32 v0, null, v1, v1, v10
	v_div_scale_f32 v2, null, v1, v1, v11
	v_div_scale_f32 v3, null, v1, v1, v18
	s_delay_alu instid0(VALU_DEP_3) | instskip(NEXT) | instid1(VALU_DEP_2)
	v_rcp_f32_e32 v4, v0
	v_rcp_f32_e32 v5, v2
	v_div_scale_f32 v7, vcc_lo, v10, v1, v10
	s_delay_alu instid0(VALU_DEP_2) | instskip(SKIP_1) | instid1(TRANS32_DEP_3)
	v_rcp_f32_e32 v6, v3
	v_div_scale_f32 v14, s0, v11, v1, v11
	v_fma_f32 v12, -v0, v4, 1.0
	s_delay_alu instid0(TRANS32_DEP_2) | instskip(NEXT) | instid1(TRANS32_DEP_1)
	v_fma_f32 v13, -v2, v5, 1.0
	v_fma_f32 v15, -v3, v6, 1.0
	s_delay_alu instid0(VALU_DEP_2) | instskip(SKIP_1) | instid1(VALU_DEP_2)
	v_dual_fmac_f32 v4, v12, v4 :: v_dual_fmac_f32 v5, v13, v5
	v_div_scale_f32 v12, s1, v18, v1, v18
	v_dual_fmac_f32 v6, v15, v6 :: v_dual_mul_f32 v15, v14, v5
	s_delay_alu instid0(VALU_DEP_1) | instskip(NEXT) | instid1(VALU_DEP_1)
	v_dual_mul_f32 v13, v7, v4 :: v_dual_mul_f32 v16, v12, v6
	v_dual_fma_f32 v19, -v2, v15, v14 :: v_dual_fma_f32 v17, -v0, v13, v7
	s_delay_alu instid0(VALU_DEP_1) | instskip(NEXT) | instid1(VALU_DEP_1)
	v_dual_fmac_f32 v15, v19, v5 :: v_dual_fmac_f32 v13, v17, v4
	v_dual_fma_f32 v20, -v3, v16, v12 :: v_dual_fma_f32 v2, -v2, v15, v14
	s_delay_alu instid0(VALU_DEP_2) | instskip(NEXT) | instid1(VALU_DEP_2)
	v_fma_f32 v0, -v0, v13, v7
	v_fmac_f32_e32 v16, v20, v6
	s_delay_alu instid0(VALU_DEP_2) | instskip(NEXT) | instid1(VALU_DEP_2)
	v_div_fmas_f32 v0, v0, v4, v13
	v_fma_f32 v3, -v3, v16, v12
	s_mov_b32 vcc_lo, s0
	v_div_fmas_f32 v4, v2, v5, v15
	s_mov_b32 vcc_lo, s1
	v_div_fixup_f32 v2, v0, v1, v10
	v_div_fmas_f32 v5, v3, v6, v16
	v_lshl_add_u64 v[6:7], v[8:9], 2, s[2:3]
	v_div_fixup_f32 v3, v4, v1, v11
	s_delay_alu instid0(VALU_DEP_3)
	v_div_fixup_f32 v4, v5, v1, v18
	global_store_b96 v[6:7], v[2:4], off
.LBB1_18:
	s_endpgm
	.section	.rodata,"a",@progbits
	.p2align	6, 0x0
	.amdhsa_kernel _ZN10mean_shift3gpu17mean_shift_tilingEPKfPf
		.amdhsa_group_segment_fixed_size 1024
		.amdhsa_private_segment_fixed_size 0
		.amdhsa_kernarg_size 272
		.amdhsa_user_sgpr_count 2
		.amdhsa_user_sgpr_dispatch_ptr 0
		.amdhsa_user_sgpr_queue_ptr 0
		.amdhsa_user_sgpr_kernarg_segment_ptr 1
		.amdhsa_user_sgpr_dispatch_id 0
		.amdhsa_user_sgpr_kernarg_preload_length 0
		.amdhsa_user_sgpr_kernarg_preload_offset 0
		.amdhsa_user_sgpr_private_segment_size 0
		.amdhsa_wavefront_size32 1
		.amdhsa_uses_dynamic_stack 0
		.amdhsa_enable_private_segment 0
		.amdhsa_system_sgpr_workgroup_id_x 1
		.amdhsa_system_sgpr_workgroup_id_y 0
		.amdhsa_system_sgpr_workgroup_id_z 0
		.amdhsa_system_sgpr_workgroup_info 0
		.amdhsa_system_vgpr_workitem_id 0
		.amdhsa_next_free_vgpr 24
		.amdhsa_next_free_sgpr 8
		.amdhsa_named_barrier_count 0
		.amdhsa_reserve_vcc 1
		.amdhsa_float_round_mode_32 0
		.amdhsa_float_round_mode_16_64 0
		.amdhsa_float_denorm_mode_32 3
		.amdhsa_float_denorm_mode_16_64 3
		.amdhsa_fp16_overflow 0
		.amdhsa_memory_ordered 1
		.amdhsa_forward_progress 1
		.amdhsa_inst_pref_size 14
		.amdhsa_round_robin_scheduling 0
		.amdhsa_exception_fp_ieee_invalid_op 0
		.amdhsa_exception_fp_denorm_src 0
		.amdhsa_exception_fp_ieee_div_zero 0
		.amdhsa_exception_fp_ieee_overflow 0
		.amdhsa_exception_fp_ieee_underflow 0
		.amdhsa_exception_fp_ieee_inexact 0
		.amdhsa_exception_int_div_zero 0
	.end_amdhsa_kernel
	.text
.Lfunc_end1:
	.size	_ZN10mean_shift3gpu17mean_shift_tilingEPKfPf, .Lfunc_end1-_ZN10mean_shift3gpu17mean_shift_tilingEPKfPf
                                        ; -- End function
	.set _ZN10mean_shift3gpu17mean_shift_tilingEPKfPf.num_vgpr, 24
	.set _ZN10mean_shift3gpu17mean_shift_tilingEPKfPf.num_agpr, 0
	.set _ZN10mean_shift3gpu17mean_shift_tilingEPKfPf.numbered_sgpr, 8
	.set _ZN10mean_shift3gpu17mean_shift_tilingEPKfPf.num_named_barrier, 0
	.set _ZN10mean_shift3gpu17mean_shift_tilingEPKfPf.private_seg_size, 0
	.set _ZN10mean_shift3gpu17mean_shift_tilingEPKfPf.uses_vcc, 1
	.set _ZN10mean_shift3gpu17mean_shift_tilingEPKfPf.uses_flat_scratch, 0
	.set _ZN10mean_shift3gpu17mean_shift_tilingEPKfPf.has_dyn_sized_stack, 0
	.set _ZN10mean_shift3gpu17mean_shift_tilingEPKfPf.has_recursion, 0
	.set _ZN10mean_shift3gpu17mean_shift_tilingEPKfPf.has_indirect_call, 0
	.section	.AMDGPU.csdata,"",@progbits
; Kernel info:
; codeLenInByte = 1668
; TotalNumSgprs: 10
; NumVgprs: 24
; ScratchSize: 0
; MemoryBound: 0
; FloatMode: 240
; IeeeMode: 1
; LDSByteSize: 1024 bytes/workgroup (compile time only)
; SGPRBlocks: 0
; VGPRBlocks: 1
; NumSGPRsForWavesPerEU: 10
; NumVGPRsForWavesPerEU: 24
; NamedBarCnt: 0
; Occupancy: 16
; WaveLimiterHint : 0
; COMPUTE_PGM_RSRC2:SCRATCH_EN: 0
; COMPUTE_PGM_RSRC2:USER_SGPR: 2
; COMPUTE_PGM_RSRC2:TRAP_HANDLER: 0
; COMPUTE_PGM_RSRC2:TGID_X_EN: 1
; COMPUTE_PGM_RSRC2:TGID_Y_EN: 0
; COMPUTE_PGM_RSRC2:TGID_Z_EN: 0
; COMPUTE_PGM_RSRC2:TIDIG_COMP_CNT: 0
	.text
	.p2alignl 7, 3214868480
	.fill 96, 4, 3214868480
	.section	.AMDGPU.gpr_maximums,"",@progbits
	.set amdgpu.max_num_vgpr, 0
	.set amdgpu.max_num_agpr, 0
	.set amdgpu.max_num_sgpr, 0
	.text
	.type	__hip_cuid_b39ce0e7c976fbc,@object ; @__hip_cuid_b39ce0e7c976fbc
	.section	.bss,"aw",@nobits
	.globl	__hip_cuid_b39ce0e7c976fbc
__hip_cuid_b39ce0e7c976fbc:
	.byte	0                               ; 0x0
	.size	__hip_cuid_b39ce0e7c976fbc, 1

	.ident	"AMD clang version 22.0.0git (https://github.com/RadeonOpenCompute/llvm-project roc-7.2.4 26084 f58b06dce1f9c15707c5f808fd002e18c2accf7e)"
	.section	".note.GNU-stack","",@progbits
	.addrsig
	.addrsig_sym __hip_cuid_b39ce0e7c976fbc
	.amdgpu_metadata
---
amdhsa.kernels:
  - .args:
      - .address_space:  global
        .offset:         0
        .size:           8
        .value_kind:     global_buffer
      - .address_space:  global
        .offset:         8
        .size:           8
        .value_kind:     global_buffer
      - .offset:         16
        .size:           4
        .value_kind:     hidden_block_count_x
      - .offset:         20
        .size:           4
        .value_kind:     hidden_block_count_y
      - .offset:         24
        .size:           4
        .value_kind:     hidden_block_count_z
      - .offset:         28
        .size:           2
        .value_kind:     hidden_group_size_x
      - .offset:         30
        .size:           2
        .value_kind:     hidden_group_size_y
      - .offset:         32
        .size:           2
        .value_kind:     hidden_group_size_z
      - .offset:         34
        .size:           2
        .value_kind:     hidden_remainder_x
      - .offset:         36
        .size:           2
        .value_kind:     hidden_remainder_y
      - .offset:         38
        .size:           2
        .value_kind:     hidden_remainder_z
      - .offset:         56
        .size:           8
        .value_kind:     hidden_global_offset_x
      - .offset:         64
        .size:           8
        .value_kind:     hidden_global_offset_y
      - .offset:         72
        .size:           8
        .value_kind:     hidden_global_offset_z
      - .offset:         80
        .size:           2
        .value_kind:     hidden_grid_dims
    .group_segment_fixed_size: 0
    .kernarg_segment_align: 8
    .kernarg_segment_size: 272
    .language:       OpenCL C
    .language_version:
      - 2
      - 0
    .max_flat_workgroup_size: 1024
    .name:           _ZN10mean_shift3gpu10mean_shiftEPKfPf
    .private_segment_fixed_size: 0
    .sgpr_count:     14
    .sgpr_spill_count: 0
    .symbol:         _ZN10mean_shift3gpu10mean_shiftEPKfPf.kd
    .uniform_work_group_size: 1
    .uses_dynamic_stack: false
    .vgpr_count:     21
    .vgpr_spill_count: 0
    .wavefront_size: 32
  - .args:
      - .address_space:  global
        .offset:         0
        .size:           8
        .value_kind:     global_buffer
      - .address_space:  global
        .offset:         8
        .size:           8
        .value_kind:     global_buffer
      - .offset:         16
        .size:           4
        .value_kind:     hidden_block_count_x
      - .offset:         20
        .size:           4
        .value_kind:     hidden_block_count_y
      - .offset:         24
        .size:           4
        .value_kind:     hidden_block_count_z
      - .offset:         28
        .size:           2
        .value_kind:     hidden_group_size_x
      - .offset:         30
        .size:           2
        .value_kind:     hidden_group_size_y
      - .offset:         32
        .size:           2
        .value_kind:     hidden_group_size_z
      - .offset:         34
        .size:           2
        .value_kind:     hidden_remainder_x
      - .offset:         36
        .size:           2
        .value_kind:     hidden_remainder_y
      - .offset:         38
        .size:           2
        .value_kind:     hidden_remainder_z
      - .offset:         56
        .size:           8
        .value_kind:     hidden_global_offset_x
      - .offset:         64
        .size:           8
        .value_kind:     hidden_global_offset_y
      - .offset:         72
        .size:           8
        .value_kind:     hidden_global_offset_z
      - .offset:         80
        .size:           2
        .value_kind:     hidden_grid_dims
    .group_segment_fixed_size: 1024
    .kernarg_segment_align: 8
    .kernarg_segment_size: 272
    .language:       OpenCL C
    .language_version:
      - 2
      - 0
    .max_flat_workgroup_size: 1024
    .name:           _ZN10mean_shift3gpu17mean_shift_tilingEPKfPf
    .private_segment_fixed_size: 0
    .sgpr_count:     10
    .sgpr_spill_count: 0
    .symbol:         _ZN10mean_shift3gpu17mean_shift_tilingEPKfPf.kd
    .uniform_work_group_size: 1
    .uses_dynamic_stack: false
    .vgpr_count:     24
    .vgpr_spill_count: 0
    .wavefront_size: 32
amdhsa.target:   amdgcn-amd-amdhsa--gfx1250
amdhsa.version:
  - 1
  - 2
...

	.end_amdgpu_metadata
